;; amdgpu-corpus repo=ROCm/rocFFT kind=compiled arch=gfx1100 opt=O3
	.text
	.amdgcn_target "amdgcn-amd-amdhsa--gfx1100"
	.amdhsa_code_object_version 6
	.protected	fft_rtc_back_len714_factors_3_17_7_2_wgs_51_tpt_51_halfLds_half_ip_CI_unitstride_sbrr_dirReg ; -- Begin function fft_rtc_back_len714_factors_3_17_7_2_wgs_51_tpt_51_halfLds_half_ip_CI_unitstride_sbrr_dirReg
	.globl	fft_rtc_back_len714_factors_3_17_7_2_wgs_51_tpt_51_halfLds_half_ip_CI_unitstride_sbrr_dirReg
	.p2align	8
	.type	fft_rtc_back_len714_factors_3_17_7_2_wgs_51_tpt_51_halfLds_half_ip_CI_unitstride_sbrr_dirReg,@function
fft_rtc_back_len714_factors_3_17_7_2_wgs_51_tpt_51_halfLds_half_ip_CI_unitstride_sbrr_dirReg: ; @fft_rtc_back_len714_factors_3_17_7_2_wgs_51_tpt_51_halfLds_half_ip_CI_unitstride_sbrr_dirReg
; %bb.0:
	s_clause 0x2
	s_load_b128 s[4:7], s[0:1], 0x0
	s_load_b64 s[8:9], s[0:1], 0x50
	s_load_b64 s[10:11], s[0:1], 0x18
	v_mul_u32_u24_e32 v1, 0x506, v0
	v_mov_b32_e32 v3, 0
	v_mov_b32_e32 v4, 0
	s_delay_alu instid0(VALU_DEP_3) | instskip(SKIP_1) | instid1(VALU_DEP_1)
	v_lshrrev_b32_e32 v2, 16, v1
	v_mov_b32_e32 v1, 0
	v_dual_mov_b32 v6, v1 :: v_dual_add_nc_u32 v5, s15, v2
	s_waitcnt lgkmcnt(0)
	v_cmp_lt_u64_e64 s2, s[6:7], 2
	s_delay_alu instid0(VALU_DEP_1)
	s_and_b32 vcc_lo, exec_lo, s2
	s_cbranch_vccnz .LBB0_8
; %bb.1:
	s_load_b64 s[2:3], s[0:1], 0x10
	v_mov_b32_e32 v3, 0
	s_add_u32 s12, s10, 8
	v_mov_b32_e32 v4, 0
	s_addc_u32 s13, s11, 0
	s_mov_b64 s[16:17], 1
	s_waitcnt lgkmcnt(0)
	s_add_u32 s14, s2, 8
	s_addc_u32 s15, s3, 0
.LBB0_2:                                ; =>This Inner Loop Header: Depth=1
	s_load_b64 s[18:19], s[14:15], 0x0
                                        ; implicit-def: $vgpr7_vgpr8
	s_mov_b32 s2, exec_lo
	s_waitcnt lgkmcnt(0)
	v_or_b32_e32 v2, s19, v6
	s_delay_alu instid0(VALU_DEP_1)
	v_cmpx_ne_u64_e32 0, v[1:2]
	s_xor_b32 s3, exec_lo, s2
	s_cbranch_execz .LBB0_4
; %bb.3:                                ;   in Loop: Header=BB0_2 Depth=1
	v_cvt_f32_u32_e32 v2, s18
	v_cvt_f32_u32_e32 v7, s19
	s_sub_u32 s2, 0, s18
	s_subb_u32 s20, 0, s19
	s_delay_alu instid0(VALU_DEP_1) | instskip(NEXT) | instid1(VALU_DEP_1)
	v_fmac_f32_e32 v2, 0x4f800000, v7
	v_rcp_f32_e32 v2, v2
	s_waitcnt_depctr 0xfff
	v_mul_f32_e32 v2, 0x5f7ffffc, v2
	s_delay_alu instid0(VALU_DEP_1) | instskip(NEXT) | instid1(VALU_DEP_1)
	v_mul_f32_e32 v7, 0x2f800000, v2
	v_trunc_f32_e32 v7, v7
	s_delay_alu instid0(VALU_DEP_1) | instskip(SKIP_1) | instid1(VALU_DEP_2)
	v_fmac_f32_e32 v2, 0xcf800000, v7
	v_cvt_u32_f32_e32 v7, v7
	v_cvt_u32_f32_e32 v2, v2
	s_delay_alu instid0(VALU_DEP_2) | instskip(NEXT) | instid1(VALU_DEP_2)
	v_mul_lo_u32 v8, s2, v7
	v_mul_hi_u32 v9, s2, v2
	v_mul_lo_u32 v10, s20, v2
	s_delay_alu instid0(VALU_DEP_2) | instskip(SKIP_1) | instid1(VALU_DEP_2)
	v_add_nc_u32_e32 v8, v9, v8
	v_mul_lo_u32 v9, s2, v2
	v_add_nc_u32_e32 v8, v8, v10
	s_delay_alu instid0(VALU_DEP_2) | instskip(NEXT) | instid1(VALU_DEP_2)
	v_mul_hi_u32 v10, v2, v9
	v_mul_lo_u32 v11, v2, v8
	v_mul_hi_u32 v12, v2, v8
	v_mul_hi_u32 v13, v7, v9
	v_mul_lo_u32 v9, v7, v9
	v_mul_hi_u32 v14, v7, v8
	v_mul_lo_u32 v8, v7, v8
	v_add_co_u32 v10, vcc_lo, v10, v11
	v_add_co_ci_u32_e32 v11, vcc_lo, 0, v12, vcc_lo
	s_delay_alu instid0(VALU_DEP_2) | instskip(NEXT) | instid1(VALU_DEP_2)
	v_add_co_u32 v9, vcc_lo, v10, v9
	v_add_co_ci_u32_e32 v9, vcc_lo, v11, v13, vcc_lo
	v_add_co_ci_u32_e32 v10, vcc_lo, 0, v14, vcc_lo
	s_delay_alu instid0(VALU_DEP_2) | instskip(NEXT) | instid1(VALU_DEP_2)
	v_add_co_u32 v8, vcc_lo, v9, v8
	v_add_co_ci_u32_e32 v9, vcc_lo, 0, v10, vcc_lo
	s_delay_alu instid0(VALU_DEP_2) | instskip(NEXT) | instid1(VALU_DEP_2)
	v_add_co_u32 v2, vcc_lo, v2, v8
	v_add_co_ci_u32_e32 v7, vcc_lo, v7, v9, vcc_lo
	s_delay_alu instid0(VALU_DEP_2) | instskip(SKIP_1) | instid1(VALU_DEP_3)
	v_mul_hi_u32 v8, s2, v2
	v_mul_lo_u32 v10, s20, v2
	v_mul_lo_u32 v9, s2, v7
	s_delay_alu instid0(VALU_DEP_1) | instskip(SKIP_1) | instid1(VALU_DEP_2)
	v_add_nc_u32_e32 v8, v8, v9
	v_mul_lo_u32 v9, s2, v2
	v_add_nc_u32_e32 v8, v8, v10
	s_delay_alu instid0(VALU_DEP_2) | instskip(NEXT) | instid1(VALU_DEP_2)
	v_mul_hi_u32 v10, v2, v9
	v_mul_lo_u32 v11, v2, v8
	v_mul_hi_u32 v12, v2, v8
	v_mul_hi_u32 v13, v7, v9
	v_mul_lo_u32 v9, v7, v9
	v_mul_hi_u32 v14, v7, v8
	v_mul_lo_u32 v8, v7, v8
	v_add_co_u32 v10, vcc_lo, v10, v11
	v_add_co_ci_u32_e32 v11, vcc_lo, 0, v12, vcc_lo
	s_delay_alu instid0(VALU_DEP_2) | instskip(NEXT) | instid1(VALU_DEP_2)
	v_add_co_u32 v9, vcc_lo, v10, v9
	v_add_co_ci_u32_e32 v9, vcc_lo, v11, v13, vcc_lo
	v_add_co_ci_u32_e32 v10, vcc_lo, 0, v14, vcc_lo
	s_delay_alu instid0(VALU_DEP_2) | instskip(NEXT) | instid1(VALU_DEP_2)
	v_add_co_u32 v8, vcc_lo, v9, v8
	v_add_co_ci_u32_e32 v9, vcc_lo, 0, v10, vcc_lo
	s_delay_alu instid0(VALU_DEP_2) | instskip(NEXT) | instid1(VALU_DEP_2)
	v_add_co_u32 v2, vcc_lo, v2, v8
	v_add_co_ci_u32_e32 v13, vcc_lo, v7, v9, vcc_lo
	s_delay_alu instid0(VALU_DEP_2) | instskip(SKIP_1) | instid1(VALU_DEP_3)
	v_mul_hi_u32 v14, v5, v2
	v_mad_u64_u32 v[9:10], null, v6, v2, 0
	v_mad_u64_u32 v[7:8], null, v5, v13, 0
	;; [unrolled: 1-line block ×3, first 2 shown]
	s_delay_alu instid0(VALU_DEP_2) | instskip(NEXT) | instid1(VALU_DEP_3)
	v_add_co_u32 v2, vcc_lo, v14, v7
	v_add_co_ci_u32_e32 v7, vcc_lo, 0, v8, vcc_lo
	s_delay_alu instid0(VALU_DEP_2) | instskip(NEXT) | instid1(VALU_DEP_2)
	v_add_co_u32 v2, vcc_lo, v2, v9
	v_add_co_ci_u32_e32 v2, vcc_lo, v7, v10, vcc_lo
	v_add_co_ci_u32_e32 v7, vcc_lo, 0, v12, vcc_lo
	s_delay_alu instid0(VALU_DEP_2) | instskip(NEXT) | instid1(VALU_DEP_2)
	v_add_co_u32 v2, vcc_lo, v2, v11
	v_add_co_ci_u32_e32 v9, vcc_lo, 0, v7, vcc_lo
	s_delay_alu instid0(VALU_DEP_2) | instskip(SKIP_1) | instid1(VALU_DEP_3)
	v_mul_lo_u32 v10, s19, v2
	v_mad_u64_u32 v[7:8], null, s18, v2, 0
	v_mul_lo_u32 v11, s18, v9
	s_delay_alu instid0(VALU_DEP_2) | instskip(NEXT) | instid1(VALU_DEP_2)
	v_sub_co_u32 v7, vcc_lo, v5, v7
	v_add3_u32 v8, v8, v11, v10
	s_delay_alu instid0(VALU_DEP_1) | instskip(NEXT) | instid1(VALU_DEP_1)
	v_sub_nc_u32_e32 v10, v6, v8
	v_subrev_co_ci_u32_e64 v10, s2, s19, v10, vcc_lo
	v_add_co_u32 v11, s2, v2, 2
	s_delay_alu instid0(VALU_DEP_1) | instskip(SKIP_3) | instid1(VALU_DEP_3)
	v_add_co_ci_u32_e64 v12, s2, 0, v9, s2
	v_sub_co_u32 v13, s2, v7, s18
	v_sub_co_ci_u32_e32 v8, vcc_lo, v6, v8, vcc_lo
	v_subrev_co_ci_u32_e64 v10, s2, 0, v10, s2
	v_cmp_le_u32_e32 vcc_lo, s18, v13
	s_delay_alu instid0(VALU_DEP_3) | instskip(SKIP_1) | instid1(VALU_DEP_4)
	v_cmp_eq_u32_e64 s2, s19, v8
	v_cndmask_b32_e64 v13, 0, -1, vcc_lo
	v_cmp_le_u32_e32 vcc_lo, s19, v10
	v_cndmask_b32_e64 v14, 0, -1, vcc_lo
	v_cmp_le_u32_e32 vcc_lo, s18, v7
	;; [unrolled: 2-line block ×3, first 2 shown]
	v_cndmask_b32_e64 v15, 0, -1, vcc_lo
	v_cmp_eq_u32_e32 vcc_lo, s19, v10
	s_delay_alu instid0(VALU_DEP_2) | instskip(SKIP_3) | instid1(VALU_DEP_3)
	v_cndmask_b32_e64 v7, v15, v7, s2
	v_cndmask_b32_e32 v10, v14, v13, vcc_lo
	v_add_co_u32 v13, vcc_lo, v2, 1
	v_add_co_ci_u32_e32 v14, vcc_lo, 0, v9, vcc_lo
	v_cmp_ne_u32_e32 vcc_lo, 0, v10
	s_delay_alu instid0(VALU_DEP_2) | instskip(NEXT) | instid1(VALU_DEP_4)
	v_cndmask_b32_e32 v8, v14, v12, vcc_lo
	v_cndmask_b32_e32 v10, v13, v11, vcc_lo
	v_cmp_ne_u32_e32 vcc_lo, 0, v7
	s_delay_alu instid0(VALU_DEP_2)
	v_dual_cndmask_b32 v7, v2, v10 :: v_dual_cndmask_b32 v8, v9, v8
.LBB0_4:                                ;   in Loop: Header=BB0_2 Depth=1
	s_and_not1_saveexec_b32 s2, s3
	s_cbranch_execz .LBB0_6
; %bb.5:                                ;   in Loop: Header=BB0_2 Depth=1
	v_cvt_f32_u32_e32 v2, s18
	s_sub_i32 s3, 0, s18
	s_delay_alu instid0(VALU_DEP_1) | instskip(SKIP_2) | instid1(VALU_DEP_1)
	v_rcp_iflag_f32_e32 v2, v2
	s_waitcnt_depctr 0xfff
	v_mul_f32_e32 v2, 0x4f7ffffe, v2
	v_cvt_u32_f32_e32 v2, v2
	s_delay_alu instid0(VALU_DEP_1) | instskip(NEXT) | instid1(VALU_DEP_1)
	v_mul_lo_u32 v7, s3, v2
	v_mul_hi_u32 v7, v2, v7
	s_delay_alu instid0(VALU_DEP_1) | instskip(NEXT) | instid1(VALU_DEP_1)
	v_add_nc_u32_e32 v2, v2, v7
	v_mul_hi_u32 v2, v5, v2
	s_delay_alu instid0(VALU_DEP_1) | instskip(SKIP_1) | instid1(VALU_DEP_2)
	v_mul_lo_u32 v7, v2, s18
	v_add_nc_u32_e32 v8, 1, v2
	v_sub_nc_u32_e32 v7, v5, v7
	s_delay_alu instid0(VALU_DEP_1) | instskip(SKIP_1) | instid1(VALU_DEP_2)
	v_subrev_nc_u32_e32 v9, s18, v7
	v_cmp_le_u32_e32 vcc_lo, s18, v7
	v_dual_cndmask_b32 v7, v7, v9 :: v_dual_cndmask_b32 v2, v2, v8
	s_delay_alu instid0(VALU_DEP_1) | instskip(NEXT) | instid1(VALU_DEP_2)
	v_cmp_le_u32_e32 vcc_lo, s18, v7
	v_add_nc_u32_e32 v8, 1, v2
	s_delay_alu instid0(VALU_DEP_1)
	v_dual_cndmask_b32 v7, v2, v8 :: v_dual_mov_b32 v8, v1
.LBB0_6:                                ;   in Loop: Header=BB0_2 Depth=1
	s_or_b32 exec_lo, exec_lo, s2
	s_load_b64 s[2:3], s[12:13], 0x0
	s_delay_alu instid0(VALU_DEP_1) | instskip(NEXT) | instid1(VALU_DEP_2)
	v_mul_lo_u32 v2, v8, s18
	v_mul_lo_u32 v11, v7, s19
	v_mad_u64_u32 v[9:10], null, v7, s18, 0
	s_add_u32 s16, s16, 1
	s_addc_u32 s17, s17, 0
	s_add_u32 s12, s12, 8
	s_addc_u32 s13, s13, 0
	;; [unrolled: 2-line block ×3, first 2 shown]
	s_delay_alu instid0(VALU_DEP_1) | instskip(SKIP_1) | instid1(VALU_DEP_2)
	v_add3_u32 v2, v10, v11, v2
	v_sub_co_u32 v9, vcc_lo, v5, v9
	v_sub_co_ci_u32_e32 v2, vcc_lo, v6, v2, vcc_lo
	s_waitcnt lgkmcnt(0)
	s_delay_alu instid0(VALU_DEP_2) | instskip(NEXT) | instid1(VALU_DEP_2)
	v_mul_lo_u32 v10, s3, v9
	v_mul_lo_u32 v2, s2, v2
	v_mad_u64_u32 v[5:6], null, s2, v9, v[3:4]
	v_cmp_ge_u64_e64 s2, s[16:17], s[6:7]
	s_delay_alu instid0(VALU_DEP_1) | instskip(NEXT) | instid1(VALU_DEP_2)
	s_and_b32 vcc_lo, exec_lo, s2
	v_add3_u32 v4, v10, v6, v2
	s_delay_alu instid0(VALU_DEP_3)
	v_mov_b32_e32 v3, v5
	s_cbranch_vccnz .LBB0_9
; %bb.7:                                ;   in Loop: Header=BB0_2 Depth=1
	v_dual_mov_b32 v5, v7 :: v_dual_mov_b32 v6, v8
	s_branch .LBB0_2
.LBB0_8:
	v_dual_mov_b32 v8, v6 :: v_dual_mov_b32 v7, v5
.LBB0_9:
	s_lshl_b64 s[2:3], s[6:7], 3
                                        ; implicit-def: $vgpr43
                                        ; implicit-def: $vgpr14
                                        ; implicit-def: $vgpr37
                                        ; implicit-def: $vgpr26
                                        ; implicit-def: $vgpr12
                                        ; implicit-def: $vgpr9
                                        ; implicit-def: $vgpr44
                                        ; implicit-def: $vgpr40
                                        ; implicit-def: $vgpr21
                                        ; implicit-def: $vgpr24
                                        ; implicit-def: $vgpr13
                                        ; implicit-def: $vgpr42
                                        ; implicit-def: $vgpr10
                                        ; implicit-def: $vgpr41
                                        ; implicit-def: $vgpr22
                                        ; implicit-def: $vgpr28
                                        ; implicit-def: $vgpr18
                                        ; implicit-def: $vgpr39
                                        ; implicit-def: $vgpr27
                                        ; implicit-def: $vgpr20
                                        ; implicit-def: $vgpr25
                                        ; implicit-def: $vgpr11
                                        ; implicit-def: $vgpr15
                                        ; implicit-def: $vgpr16
	s_delay_alu instid0(SALU_CYCLE_1)
	s_add_u32 s2, s10, s2
	s_addc_u32 s3, s11, s3
	s_load_b64 s[2:3], s[2:3], 0x0
	s_load_b64 s[0:1], s[0:1], 0x20
	s_waitcnt lgkmcnt(0)
	v_mul_lo_u32 v5, s2, v8
	v_mul_lo_u32 v6, s3, v7
	v_mad_u64_u32 v[1:2], null, s2, v7, v[3:4]
	v_mul_hi_u32 v3, 0x5050506, v0
	v_cmp_gt_u64_e32 vcc_lo, s[0:1], v[7:8]
                                        ; implicit-def: $vgpr8
                                        ; implicit-def: $vgpr7
	s_delay_alu instid0(VALU_DEP_3) | instskip(NEXT) | instid1(VALU_DEP_3)
	v_add3_u32 v2, v6, v2, v5
                                        ; implicit-def: $vgpr5
                                        ; implicit-def: $vgpr6
	v_mul_u32_u24_e32 v4, 51, v3
	s_delay_alu instid0(VALU_DEP_2) | instskip(NEXT) | instid1(VALU_DEP_2)
	v_lshlrev_b64 v[2:3], 2, v[1:2]
                                        ; implicit-def: $vgpr1
	v_sub_nc_u32_e32 v0, v0, v4
                                        ; implicit-def: $vgpr4
	s_and_saveexec_b32 s1, vcc_lo
	s_cbranch_execz .LBB0_13
; %bb.10:
	v_mov_b32_e32 v1, 0
	s_mov_b32 s2, exec_lo
                                        ; implicit-def: $vgpr16
                                        ; implicit-def: $vgpr15
                                        ; implicit-def: $vgpr11
                                        ; implicit-def: $vgpr25
                                        ; implicit-def: $vgpr20
                                        ; implicit-def: $vgpr27
	s_delay_alu instid0(VALU_DEP_1) | instskip(SKIP_1) | instid1(VALU_DEP_1)
	v_lshlrev_b64 v[4:5], 2, v[0:1]
	v_add_co_u32 v1, s0, s8, v2
	v_add_co_ci_u32_e64 v6, s0, s9, v3, s0
	s_delay_alu instid0(VALU_DEP_2) | instskip(NEXT) | instid1(VALU_DEP_1)
	v_add_co_u32 v4, s0, v1, v4
	v_add_co_ci_u32_e64 v5, s0, v6, v5, s0
	s_clause 0xb
	global_load_b32 v8, v[4:5], off
	global_load_b32 v9, v[4:5], off offset:204
	global_load_b32 v13, v[4:5], off offset:408
	;; [unrolled: 1-line block ×11, first 2 shown]
	v_cmpx_gt_u32_e32 34, v0
	s_cbranch_execz .LBB0_12
; %bb.11:
	s_clause 0x2
	global_load_b32 v20, v[4:5], off offset:816
	global_load_b32 v11, v[4:5], off offset:1768
	;; [unrolled: 1-line block ×3, first 2 shown]
	s_waitcnt vmcnt(2)
	v_lshrrev_b32_e32 v27, 16, v20
	s_waitcnt vmcnt(1)
	v_lshrrev_b32_e32 v25, 16, v11
	;; [unrolled: 2-line block ×3, first 2 shown]
.LBB0_12:
	s_or_b32 exec_lo, exec_lo, s2
	s_waitcnt vmcnt(11)
	v_lshrrev_b32_e32 v5, 16, v8
	s_waitcnt vmcnt(5)
	v_lshrrev_b32_e32 v43, 16, v14
	;; [unrolled: 2-line block ×3, first 2 shown]
	v_lshrrev_b32_e32 v12, 16, v9
	v_lshrrev_b32_e32 v44, 16, v7
	s_waitcnt vmcnt(2)
	v_lshrrev_b32_e32 v40, 16, v21
	v_lshrrev_b32_e32 v24, 16, v13
	v_lshrrev_b32_e32 v42, 16, v10
	s_waitcnt vmcnt(1)
	v_lshrrev_b32_e32 v41, 16, v22
	;; [unrolled: 4-line block ×3, first 2 shown]
.LBB0_13:
	s_or_b32 exec_lo, exec_lo, s1
	v_add_f16_e32 v17, v14, v26
	v_add_f16_e32 v19, v8, v14
	v_sub_f16_e32 v23, v43, v37
	v_add_f16_e32 v29, v7, v21
	v_add_f16_e32 v30, v9, v7
	v_fmac_f16_e32 v8, -0.5, v17
	v_add_f16_e32 v31, v10, v22
	v_sub_f16_e32 v32, v44, v40
	v_fmac_f16_e32 v9, -0.5, v29
	v_sub_f16_e32 v33, v42, v41
	v_fmamk_f16 v17, v23, 0xbaee, v8
	v_fmac_f16_e32 v8, 0x3aee, v23
	v_add_f16_e32 v23, v30, v21
	v_add_f16_e32 v30, v13, v10
	v_fmac_f16_e32 v13, -0.5, v31
	v_fmamk_f16 v29, v32, 0xbaee, v9
	v_fmac_f16_e32 v9, 0x3aee, v32
	v_add_f16_e32 v32, v1, v6
	v_add_f16_e32 v34, v18, v1
	v_fmamk_f16 v31, v33, 0xbaee, v13
	v_fmac_f16_e32 v13, 0x3aee, v33
	v_add_f16_e32 v33, v11, v16
	v_fmac_f16_e32 v18, -0.5, v32
	v_sub_f16_e32 v35, v39, v4
	v_add_f16_e32 v32, v34, v6
	v_add_f16_e32 v34, v20, v11
	v_fmac_f16_e32 v20, -0.5, v33
	v_sub_f16_e32 v36, v25, v15
	v_add_f16_e32 v19, v19, v26
	v_add_f16_e32 v30, v30, v22
	v_fmamk_f16 v33, v35, 0xbaee, v18
	v_mad_u32_u24 v47, v0, 6, 0
	v_fmac_f16_e32 v18, 0x3aee, v35
	v_add_f16_e32 v34, v34, v16
	v_fmamk_f16 v35, v36, 0xbaee, v20
	v_fmac_f16_e32 v20, 0x3aee, v36
	v_cmp_gt_u32_e64 s1, 34, v0
	ds_store_b16 v47, v19
	ds_store_b16 v47, v17 offset:2
	ds_store_b16 v47, v8 offset:4
	;; [unrolled: 1-line block ×11, first 2 shown]
	s_and_saveexec_b32 s0, s1
	s_cbranch_execz .LBB0_15
; %bb.14:
	ds_store_b16 v47, v34 offset:1224
	ds_store_b16 v47, v35 offset:1226
	;; [unrolled: 1-line block ×3, first 2 shown]
.LBB0_15:
	s_or_b32 exec_lo, exec_lo, s0
	v_cmp_gt_u32_e64 s0, 42, v0
	s_waitcnt lgkmcnt(0)
	s_barrier
	buffer_gl0_inv
                                        ; implicit-def: $vgpr36
                                        ; implicit-def: $vgpr38
	s_and_saveexec_b32 s2, s0
	s_cbranch_execz .LBB0_17
; %bb.16:
	v_lshlrev_b32_e32 v8, 2, v0
	s_delay_alu instid0(VALU_DEP_1)
	v_sub_nc_u32_e32 v36, v47, v8
	ds_load_u16 v19, v36
	ds_load_u16 v17, v36 offset:84
	ds_load_u16 v8, v36 offset:168
	;; [unrolled: 1-line block ×16, first 2 shown]
.LBB0_17:
	s_or_b32 exec_lo, exec_lo, s2
	v_add_f16_e32 v45, v43, v37
	v_add_f16_e32 v43, v5, v43
	;; [unrolled: 1-line block ×4, first 2 shown]
	v_sub_f16_e32 v7, v7, v21
	v_fmac_f16_e32 v5, -0.5, v45
	v_add_f16_e32 v45, v42, v41
	v_fmac_f16_e32 v12, -0.5, v46
	v_add_f16_e32 v21, v24, v42
	v_sub_f16_e32 v10, v10, v22
	v_sub_f16_e32 v26, v14, v26
	v_fmac_f16_e32 v24, -0.5, v45
	v_fmamk_f16 v45, v7, 0x3aee, v12
	v_fmac_f16_e32 v12, 0xbaee, v7
	v_add_f16_e32 v7, v39, v4
	v_add_f16_e32 v40, v44, v40
	v_fmamk_f16 v46, v10, 0x3aee, v24
	v_fmac_f16_e32 v24, 0xbaee, v10
	v_add_f16_e32 v10, v25, v15
	v_add_f16_e32 v44, v21, v41
	v_add_f16_e32 v21, v28, v39
	v_fmac_f16_e32 v28, -0.5, v7
	v_sub_f16_e32 v1, v1, v6
	v_add_f16_e32 v6, v27, v25
	v_fmac_f16_e32 v27, -0.5, v10
	v_sub_f16_e32 v7, v11, v16
	v_add_f16_e32 v14, v43, v37
	v_fmamk_f16 v37, v26, 0x3aee, v5
	v_fmac_f16_e32 v5, 0xbaee, v26
	v_add_f16_e32 v39, v21, v4
	v_fmamk_f16 v53, v1, 0x3aee, v28
	v_fmac_f16_e32 v28, 0xbaee, v1
	;; [unrolled: 3-line block ×3, first 2 shown]
	s_waitcnt lgkmcnt(0)
	s_barrier
	buffer_gl0_inv
	ds_store_b16 v47, v14
	ds_store_b16 v47, v37 offset:2
	ds_store_b16 v47, v5 offset:4
	;; [unrolled: 1-line block ×11, first 2 shown]
	s_and_saveexec_b32 s2, s1
	s_cbranch_execz .LBB0_19
; %bb.18:
	ds_store_b16 v47, v54 offset:1224
	ds_store_b16 v47, v55 offset:1226
	;; [unrolled: 1-line block ×3, first 2 shown]
.LBB0_19:
	s_or_b32 exec_lo, exec_lo, s2
	v_lshl_add_u32 v4, v0, 1, 0
	s_waitcnt lgkmcnt(0)
	s_barrier
	buffer_gl0_inv
                                        ; implicit-def: $vgpr56
                                        ; implicit-def: $vgpr57
	s_and_saveexec_b32 s1, s0
	s_cbranch_execz .LBB0_21
; %bb.20:
	ds_load_u16 v14, v4
	ds_load_u16 v37, v4 offset:84
	ds_load_u16 v5, v4 offset:168
	;; [unrolled: 1-line block ×16, first 2 shown]
.LBB0_21:
	s_or_b32 exec_lo, exec_lo, s1
	v_and_b32_e32 v1, 0xff, v0
	s_delay_alu instid0(VALU_DEP_1) | instskip(NEXT) | instid1(VALU_DEP_1)
	v_mul_lo_u16 v1, 0xab, v1
	v_lshrrev_b16 v1, 9, v1
	s_delay_alu instid0(VALU_DEP_1) | instskip(SKIP_1) | instid1(VALU_DEP_2)
	v_mul_lo_u16 v6, v1, 3
	v_and_b32_e32 v1, 0xffff, v1
	v_sub_nc_u16 v6, v0, v6
	s_delay_alu instid0(VALU_DEP_1) | instskip(NEXT) | instid1(VALU_DEP_1)
	v_and_b32_e32 v74, 0xff, v6
	v_lshlrev_b32_e32 v6, 6, v74
	s_clause 0x3
	global_load_b128 v[58:61], v6, s[4:5]
	global_load_b128 v[62:65], v6, s[4:5] offset:16
	global_load_b128 v[66:69], v6, s[4:5] offset:32
	;; [unrolled: 1-line block ×3, first 2 shown]
	s_waitcnt vmcnt(0) lgkmcnt(0)
	s_barrier
	buffer_gl0_inv
	v_lshrrev_b32_e32 v6, 16, v58
	v_lshrrev_b32_e32 v7, 16, v59
	;; [unrolled: 1-line block ×16, first 2 shown]
	v_mul_f16_e32 v50, v37, v6
	v_mul_f16_e32 v77, v17, v6
	v_mul_f16_e32 v47, v5, v7
	v_mul_f16_e32 v78, v8, v7
	v_mul_f16_e32 v41, v40, v10
	v_mul_f16_e32 v79, v23, v10
	v_mul_f16_e32 v25, v45, v11
	v_mul_f16_e32 v80, v29, v11
	v_mul_f16_e32 v21, v12, v15
	v_mul_f16_e32 v81, v9, v15
	v_mul_f16_e32 v15, v44, v16
	v_mul_f16_e32 v82, v30, v16
	v_mul_f16_e32 v10, v46, v22
	v_mul_f16_e32 v83, v31, v22
	v_mul_f16_e32 v6, v24, v26
	v_mul_f16_e32 v84, v13, v26
	v_mul_f16_e32 v7, v39, v42
	v_mul_f16_e32 v85, v32, v42
	v_mul_f16_e32 v11, v53, v43
	v_mul_f16_e32 v86, v33, v43
	v_mul_f16_e32 v16, v28, v48
	v_mul_f16_e32 v87, v18, v48
	v_mul_f16_e32 v22, v54, v49
	v_mul_f16_e32 v88, v34, v49
	v_mul_f16_e32 v26, v55, v51
	v_mul_f16_e32 v89, v35, v51
	v_mul_f16_e32 v42, v27, v52
	v_mul_f16_e32 v90, v20, v52
	v_mul_f16_e32 v48, v57, v75
	v_mul_f16_e32 v75, v38, v75
	v_mul_f16_e32 v51, v56, v76
	v_mul_f16_e32 v76, v36, v76
	v_fmac_f16_e32 v50, v17, v58
	v_fma_f16 v52, v37, v58, -v77
	v_fmac_f16_e32 v47, v8, v59
	v_fma_f16 v49, v5, v59, -v78
	;; [unrolled: 2-line block ×16, first 2 shown]
	v_lshlrev_b32_e32 v5, 1, v74
	s_and_saveexec_b32 s1, s0
	s_cbranch_execz .LBB0_23
; %bb.22:
	s_delay_alu instid0(VALU_DEP_2)
	v_sub_f16_e32 v55, v52, v45
	v_add_f16_e32 v33, v50, v51
	v_sub_f16_e32 v54, v49, v46
	v_add_f16_e32 v32, v47, v48
	v_sub_f16_e32 v53, v43, v44
	v_mul_f16_e32 v57, 0xb1e1, v55
	v_add_f16_e32 v31, v41, v42
	v_mul_f16_e32 v58, 0x35c8, v54
	v_sub_f16_e32 v39, v37, v40
	v_mul_f16_e32 v59, 0xb836, v53
	v_fma_f16 v69, v33, 0xbbdd, -v57
	v_fmac_f16_e32 v57, 0xbbdd, v33
	v_fma_f16 v70, v32, 0x3b76, -v58
	v_add_f16_e32 v30, v25, v26
	v_sub_f16_e32 v38, v23, v24
	v_add_f16_e32 v69, v19, v69
	v_mul_f16_e32 v60, 0x3964, v39
	v_mul_f16_e32 v65, 0xb836, v55
	v_fma_f16 v71, v31, 0xbacd, -v59
	v_fmac_f16_e32 v58, 0x3b76, v32
	v_add_f16_e32 v69, v70, v69
	v_add_f16_e32 v57, v19, v57
	;; [unrolled: 1-line block ×4, first 2 shown]
	v_sub_f16_e32 v36, v17, v18
	v_mul_f16_e32 v61, 0xba62, v38
	v_mul_f16_e32 v66, 0x3b29, v54
	v_fma_f16 v72, v30, 0x39e9, -v60
	v_fmac_f16_e32 v59, 0xbacd, v31
	v_add_f16_e32 v69, v71, v69
	v_fma_f16 v70, v33, 0xbacd, -v65
	v_add_f16_e32 v57, v58, v57
	v_add_f16_e32 v20, v20, v47
	;; [unrolled: 1-line block ×3, first 2 shown]
	v_sub_f16_e32 v35, v12, v13
	v_mul_f16_e32 v62, 0x3b29, v36
	v_mul_f16_e32 v67, 0xbbf7, v53
	v_fma_f16 v73, v29, 0xb8d2, -v61
	v_fmac_f16_e32 v60, 0x39e9, v30
	v_add_f16_e32 v58, v72, v69
	v_fma_f16 v69, v32, 0x3722, -v66
	v_add_f16_e32 v70, v19, v70
	v_add_f16_e32 v57, v59, v57
	;; [unrolled: 1-line block ×4, first 2 shown]
	v_sub_f16_e32 v34, v8, v9
	v_mul_f16_e32 v63, 0xbbb2, v35
	v_mul_f16_e32 v68, 0x3a62, v39
	v_fma_f16 v74, v28, 0x3722, -v62
	v_fmac_f16_e32 v61, 0xb8d2, v29
	v_add_f16_e32 v58, v73, v58
	v_fma_f16 v59, v31, 0x2de8, -v67
	v_add_f16_e32 v69, v69, v70
	v_add_f16_e32 v57, v60, v57
	;; [unrolled: 1-line block ×4, first 2 shown]
	v_mul_f16_e32 v64, 0x3bf7, v34
	v_fma_f16 v75, v27, 0xb461, -v63
	v_fmac_f16_e32 v62, 0x3722, v28
	v_add_f16_e32 v58, v74, v58
	v_fma_f16 v60, v30, 0xb8d2, -v68
	v_add_f16_e32 v59, v59, v69
	v_add_f16_e32 v57, v61, v57
	v_mul_f16_e32 v61, 0xb5c8, v38
	v_add_f16_e32 v58, v75, v58
	v_fma_f16 v69, v20, 0x2de8, -v64
	v_fmac_f16_e32 v63, 0xb461, v27
	v_add_f16_e32 v62, v62, v57
	v_add_f16_e32 v59, v60, v59
	v_fma_f16 v60, v29, 0x3b76, -v61
	v_mul_f16_e32 v70, 0xb1e1, v36
	v_add_f16_e32 v57, v69, v58
	v_fmac_f16_e32 v65, 0xbacd, v33
	v_add_f16_e32 v58, v63, v62
	v_add_f16_e32 v59, v60, v59
	v_fma_f16 v60, v28, 0xbbdd, -v70
	v_mul_f16_e32 v62, 0x3964, v35
	v_add_f16_e32 v63, v19, v65
	v_fmac_f16_e32 v66, 0x3722, v32
	v_fmac_f16_e32 v64, 0x2de8, v20
	v_add_f16_e32 v59, v60, v59
	v_fma_f16 v60, v27, 0x39e9, -v62
	v_mul_f16_e32 v65, 0xba62, v55
	v_add_f16_e32 v63, v66, v63
	v_fmac_f16_e32 v67, 0x2de8, v31
	v_add_f16_e32 v58, v64, v58
	v_add_f16_e32 v59, v60, v59
	v_fma_f16 v60, v33, 0xb8d2, -v65
	v_mul_f16_e32 v64, 0x3bb2, v54
	v_add_f16_e32 v63, v67, v63
	v_fmac_f16_e32 v68, 0xb8d2, v30
	v_mul_f16_e32 v69, 0xb5c8, v53
	v_add_f16_e32 v60, v19, v60
	v_fma_f16 v67, v32, 0xb461, -v64
	v_mul_f16_e32 v66, 0xbbb2, v34
	v_add_f16_e32 v63, v68, v63
	v_fmac_f16_e32 v61, 0x3b76, v29
	v_mul_f16_e32 v71, 0xb836, v39
	v_add_f16_e32 v60, v67, v60
	v_fma_f16 v67, v31, 0x3b76, -v69
	v_fma_f16 v68, v20, 0xb461, -v66
	v_add_f16_e32 v61, v61, v63
	v_fmac_f16_e32 v70, 0xbbdd, v28
	v_fma_f16 v63, v30, 0xbacd, -v71
	v_add_f16_e32 v60, v67, v60
	v_mul_f16_e32 v67, 0x3bf7, v38
	v_add_f16_e32 v59, v68, v59
	v_add_f16_e32 v61, v70, v61
	v_fmac_f16_e32 v65, 0xb8d2, v33
	v_fmac_f16_e32 v62, 0x39e9, v27
	v_add_f16_e32 v60, v63, v60
	v_fma_f16 v63, v29, 0x2de8, -v67
	v_mul_f16_e32 v68, 0xb964, v36
	v_add_f16_e32 v65, v19, v65
	v_fmac_f16_e32 v64, 0xb461, v32
	v_add_f16_e32 v61, v62, v61
	v_add_f16_e32 v60, v63, v60
	v_fma_f16 v62, v28, 0x39e9, -v68
	v_mul_f16_e32 v63, 0xb1e1, v35
	v_add_f16_e32 v64, v64, v65
	v_fmac_f16_e32 v69, 0x3b76, v31
	v_fmac_f16_e32 v66, 0xb461, v20
	v_add_f16_e32 v60, v62, v60
	v_fma_f16 v62, v27, 0xbbdd, -v63
	v_mul_f16_e32 v65, 0xbbb2, v55
	v_add_f16_e32 v64, v69, v64
	v_fmac_f16_e32 v71, 0xbacd, v30
	v_add_f16_e32 v61, v66, v61
	v_add_f16_e32 v60, v62, v60
	v_fma_f16 v62, v33, 0xb461, -v65
	v_mul_f16_e32 v66, 0x3836, v54
	v_add_f16_e32 v64, v71, v64
	v_fmac_f16_e32 v67, 0x2de8, v29
	v_mul_f16_e32 v69, 0x3b29, v34
	v_add_f16_e32 v62, v19, v62
	v_fma_f16 v70, v32, 0xbacd, -v66
	v_mul_f16_e32 v71, 0x3964, v53
	v_add_f16_e32 v64, v67, v64
	v_fmac_f16_e32 v68, 0x39e9, v28
	v_fma_f16 v67, v20, 0x3722, -v69
	v_add_f16_e32 v62, v70, v62
	v_fma_f16 v70, v31, 0x39e9, -v71
	v_mul_f16_e32 v72, 0xbb29, v39
	v_add_f16_e32 v64, v68, v64
	v_fmac_f16_e32 v63, 0xbbdd, v27
	v_add_f16_e32 v60, v67, v60
	v_add_f16_e32 v62, v70, v62
	v_fma_f16 v67, v30, 0x3722, -v72
	v_mul_f16_e32 v68, 0xb1e1, v38
	v_add_f16_e32 v63, v63, v64
	v_fmac_f16_e32 v69, 0x3722, v20
	v_fmac_f16_e32 v65, 0xb461, v33
	v_add_f16_e32 v62, v67, v62
	v_fma_f16 v64, v29, 0xbbdd, -v68
	v_mul_f16_e32 v67, 0x3bf7, v36
	v_add_f16_e32 v63, v69, v63
	v_add_f16_e32 v65, v19, v65
	v_fmac_f16_e32 v66, 0xbacd, v32
	v_add_f16_e32 v62, v64, v62
	v_fma_f16 v64, v28, 0x2de8, -v67
	v_mul_f16_e32 v69, 0xbbf7, v55
	v_fmac_f16_e32 v71, 0x39e9, v31
	v_add_f16_e32 v65, v66, v65
	v_mul_f16_e32 v66, 0xb1e1, v54
	v_add_f16_e32 v62, v64, v62
	v_fma_f16 v64, v33, 0x2de8, -v69
	v_fmac_f16_e32 v72, 0x3722, v30
	v_add_f16_e32 v65, v71, v65
	v_fma_f16 v71, v32, 0xbbdd, -v66
	v_mul_f16_e32 v74, 0x3bb2, v53
	v_add_f16_e32 v64, v19, v64
	v_mul_f16_e32 v70, 0xb5c8, v35
	v_add_f16_e32 v65, v72, v65
	v_fmac_f16_e32 v68, 0xbbdd, v29
	v_mul_f16_e32 v72, 0x35c8, v39
	v_add_f16_e32 v64, v71, v64
	v_fma_f16 v71, v31, 0xb461, -v74
	v_fma_f16 v73, v27, 0x3b76, -v70
	v_add_f16_e32 v65, v68, v65
	v_fmac_f16_e32 v67, 0x2de8, v28
	v_fma_f16 v68, v30, 0x3b76, -v72
	v_add_f16_e32 v64, v71, v64
	v_mul_f16_e32 v71, 0xbb29, v38
	v_add_f16_e32 v62, v73, v62
	v_mul_f16_e32 v73, 0xba62, v34
	v_add_f16_e32 v65, v67, v65
	v_fmac_f16_e32 v70, 0x3b76, v27
	v_add_f16_e32 v64, v68, v64
	v_fma_f16 v67, v29, 0x3722, -v71
	v_mul_f16_e32 v68, 0xb836, v36
	v_fma_f16 v75, v20, 0xb8d2, -v73
	v_fmac_f16_e32 v69, 0x2de8, v33
	v_add_f16_e32 v65, v70, v65
	v_add_f16_e32 v64, v67, v64
	v_fma_f16 v67, v28, 0xbacd, -v68
	v_mul_f16_e32 v70, 0x3a62, v35
	v_add_f16_e32 v62, v75, v62
	v_add_f16_e32 v69, v19, v69
	v_fmac_f16_e32 v66, 0xbbdd, v32
	v_add_f16_e32 v64, v67, v64
	v_fma_f16 v67, v27, 0xb8d2, -v70
	v_mul_f16_e32 v75, 0xbb29, v55
	v_fmac_f16_e32 v73, 0xb8d2, v20
	v_add_f16_e32 v66, v66, v69
	v_fmac_f16_e32 v74, 0xb461, v31
	v_add_f16_e32 v64, v67, v64
	v_fma_f16 v67, v33, 0x3722, -v75
	v_mul_f16_e32 v69, 0xba62, v54
	v_add_f16_e32 v65, v73, v65
	v_add_f16_e32 v66, v74, v66
	v_fmac_f16_e32 v72, 0x3b76, v30
	v_mul_f16_e32 v73, 0x3964, v34
	v_add_f16_e32 v67, v19, v67
	v_fma_f16 v74, v32, 0xb8d2, -v69
	v_mul_f16_e32 v76, 0x31e1, v53
	v_add_f16_e32 v66, v72, v66
	v_fmac_f16_e32 v71, 0x3722, v29
	v_fma_f16 v72, v20, 0x39e9, -v73
	v_add_f16_e32 v67, v74, v67
	v_fma_f16 v74, v31, 0xbbdd, -v76
	v_mul_f16_e32 v77, 0x3bb2, v39
	v_add_f16_e32 v66, v71, v66
	v_fmac_f16_e32 v68, 0xbacd, v28
	v_add_f16_e32 v64, v72, v64
	v_add_f16_e32 v67, v74, v67
	v_fma_f16 v71, v30, 0xb461, -v77
	v_mul_f16_e32 v72, 0x3964, v38
	v_add_f16_e32 v66, v68, v66
	v_fmac_f16_e32 v75, 0x3722, v33
	v_fmac_f16_e32 v70, 0xb8d2, v27
	v_add_f16_e32 v67, v71, v67
	v_fma_f16 v68, v29, 0x39e9, -v72
	v_mul_f16_e32 v71, 0xb5c8, v36
	v_add_f16_e32 v74, v19, v75
	v_fmac_f16_e32 v69, 0xb8d2, v32
	v_add_f16_e32 v66, v70, v66
	v_add_f16_e32 v67, v68, v67
	v_fma_f16 v68, v28, 0x3b76, -v71
	v_mul_f16_e32 v70, 0xbbf7, v35
	v_add_f16_e32 v69, v69, v74
	v_fmac_f16_e32 v76, 0xbbdd, v31
	v_fmac_f16_e32 v73, 0x39e9, v20
	v_add_f16_e32 v67, v68, v67
	v_mul_f16_e32 v68, 0xb964, v55
	v_add_f16_e32 v56, v56, v21
	v_fma_f16 v74, v27, 0x2de8, -v70
	v_add_f16_e32 v69, v76, v69
	v_fmac_f16_e32 v77, 0xb461, v30
	v_add_f16_e32 v66, v73, v66
	v_fma_f16 v73, v33, 0x39e9, -v68
	v_mul_f16_e32 v75, 0xbbf7, v54
	v_fmac_f16_e32 v68, 0x39e9, v33
	v_add_f16_e32 v56, v56, v15
	v_add_f16_e32 v67, v74, v67
	;; [unrolled: 1-line block ×3, first 2 shown]
	v_fmac_f16_e32 v72, 0x39e9, v29
	v_add_f16_e32 v73, v19, v73
	v_fma_f16 v74, v32, 0x2de8, -v75
	v_mul_f16_e32 v76, 0xba62, v53
	v_add_f16_e32 v68, v19, v68
	v_fmac_f16_e32 v75, 0x2de8, v32
	v_add_f16_e32 v56, v56, v10
	v_add_f16_e32 v69, v72, v69
	v_fmac_f16_e32 v71, 0x3b76, v28
	v_add_f16_e32 v72, v74, v73
	v_fma_f16 v73, v31, 0xb8d2, -v76
	v_mul_f16_e32 v74, 0xb1e1, v39
	v_add_f16_e32 v68, v75, v68
	v_fmac_f16_e32 v76, 0xb8d2, v31
	v_mul_f16_e32 v55, 0xb5c8, v55
	v_add_f16_e32 v56, v56, v6
	v_add_f16_e32 v69, v71, v69
	;; [unrolled: 1-line block ×3, first 2 shown]
	v_fma_f16 v72, v30, 0xbbdd, -v74
	v_add_f16_e32 v68, v76, v68
	v_fmac_f16_e32 v74, 0xbbdd, v30
	v_mul_f16_e32 v54, 0xb964, v54
	v_fma_f16 v75, v33, 0x3b76, -v55
	v_fmac_f16_e32 v55, 0x3b76, v33
	v_add_f16_e32 v56, v56, v7
	v_add_f16_e32 v68, v74, v68
	v_fma_f16 v74, v32, 0x39e9, -v54
	v_mul_f16_e32 v53, 0xbb29, v53
	v_add_f16_e32 v55, v19, v55
	v_fmac_f16_e32 v54, 0x39e9, v32
	v_add_f16_e32 v56, v56, v11
	v_add_f16_e32 v19, v19, v75
	v_fmac_f16_e32 v70, 0x2de8, v27
	v_mul_f16_e32 v73, 0x3836, v38
	v_fma_f16 v32, v31, 0x3722, -v53
	v_mul_f16_e32 v39, 0xbbf7, v39
	v_add_f16_e32 v54, v54, v55
	v_fmac_f16_e32 v53, 0x3722, v31
	v_add_f16_e32 v56, v56, v16
	v_add_f16_e32 v19, v74, v19
	v_mul_f16_e32 v77, 0xb836, v34
	v_add_f16_e32 v69, v70, v69
	v_add_f16_e32 v70, v72, v71
	v_fma_f16 v71, v29, 0xbacd, -v73
	v_mul_f16_e32 v72, 0x3bb2, v36
	v_fmac_f16_e32 v73, 0xbacd, v29
	v_fma_f16 v55, v30, 0x2de8, -v39
	v_mul_f16_e32 v38, 0xbbb2, v38
	v_add_f16_e32 v53, v53, v54
	v_fmac_f16_e32 v39, 0x2de8, v30
	v_add_f16_e32 v56, v56, v22
	v_add_f16_e32 v19, v32, v19
	v_fma_f16 v78, v20, 0xbacd, -v77
	v_add_f16_e32 v70, v71, v70
	v_fma_f16 v71, v28, 0xb461, -v72
	v_add_f16_e32 v31, v73, v68
	v_fmac_f16_e32 v72, 0xb461, v28
	v_fma_f16 v30, v29, 0xb461, -v38
	v_mul_f16_e32 v32, 0xba62, v36
	v_add_f16_e32 v36, v39, v53
	v_fmac_f16_e32 v38, 0xb461, v29
	v_add_f16_e32 v56, v56, v26
	v_add_f16_e32 v19, v55, v19
	;; [unrolled: 1-line block ×3, first 2 shown]
	v_mul_f16_e32 v78, 0x3b29, v35
	v_add_f16_e32 v29, v72, v31
	v_fma_f16 v31, v28, 0xb8d2, -v32
	v_mul_f16_e32 v35, 0xb836, v35
	v_add_f16_e32 v36, v38, v36
	v_fmac_f16_e32 v32, 0xb8d2, v28
	v_add_f16_e32 v56, v56, v42
	v_add_f16_e32 v19, v30, v19
	v_fma_f16 v28, v27, 0xbacd, -v35
	v_mul_f16_e32 v30, 0xb1e1, v34
	v_add_f16_e32 v32, v32, v36
	v_fmac_f16_e32 v35, 0xbacd, v27
	v_add_f16_e32 v70, v71, v70
	v_fma_f16 v71, v27, 0x3722, -v78
	v_mul_f16_e32 v33, 0x35c8, v34
	v_fmac_f16_e32 v78, 0x3722, v27
	v_add_f16_e32 v56, v56, v48
	v_add_f16_e32 v19, v31, v19
	v_mul_u32_u24_e32 v34, 0x66, v1
	v_fma_f16 v31, v20, 0xbbdd, -v30
	v_add_f16_e32 v32, v35, v32
	v_fmac_f16_e32 v30, 0xbbdd, v20
	v_fma_f16 v27, v20, 0x3b76, -v33
	v_add_f16_e32 v29, v78, v29
	v_fmac_f16_e32 v33, 0x3b76, v20
	v_fmac_f16_e32 v77, 0xbacd, v20
	v_add_f16_e32 v56, v56, v51
	v_add_f16_e32 v20, v71, v70
	;; [unrolled: 1-line block ×3, first 2 shown]
	v_add3_u32 v28, 0, v34, v5
	v_add_f16_e32 v30, v30, v32
	v_add_f16_e32 v29, v33, v29
	v_add_f16_e32 v69, v77, v69
	v_add_f16_e32 v20, v27, v20
	v_add_f16_e32 v19, v31, v19
	ds_store_b16 v28, v56
	ds_store_b16 v28, v30 offset:6
	ds_store_b16 v28, v29 offset:12
	;; [unrolled: 1-line block ×16, first 2 shown]
.LBB0_23:
	s_or_b32 exec_lo, exec_lo, s1
	s_waitcnt lgkmcnt(0)
	s_barrier
	buffer_gl0_inv
	ds_load_u16 v19, v4
	ds_load_u16 v29, v4 offset:816
	ds_load_u16 v27, v4 offset:714
	;; [unrolled: 1-line block ×13, first 2 shown]
	v_mul_u32_u24_e32 v53, 6, v0
	s_waitcnt lgkmcnt(0)
	s_barrier
	buffer_gl0_inv
	s_and_saveexec_b32 s1, s0
	s_cbranch_execz .LBB0_25
; %bb.24:
	v_add_f16_e32 v54, v14, v52
	v_sub_f16_e32 v47, v47, v48
	v_add_f16_e32 v52, v52, v45
	v_sub_f16_e32 v50, v50, v51
	v_add_f16_e32 v51, v49, v46
	v_add_f16_e32 v48, v54, v49
	v_sub_f16_e32 v41, v41, v42
	v_mul_f16_e32 v49, 0x3b76, v52
	v_mul_f16_e32 v54, 0x39e9, v52
	;; [unrolled: 1-line block ×3, first 2 shown]
	v_add_f16_e32 v48, v48, v43
	v_mul_f16_e32 v56, 0x2de8, v52
	v_mul_f16_e32 v57, 0xb461, v52
	;; [unrolled: 1-line block ×4, first 2 shown]
	v_add_f16_e32 v48, v48, v37
	v_mul_f16_e32 v52, 0xbbdd, v52
	v_mul_f16_e32 v60, 0x39e9, v51
	v_fmamk_f16 v65, v50, 0x35c8, v49
	v_fmac_f16_e32 v49, 0xb5c8, v50
	v_add_f16_e32 v48, v48, v23
	v_fmamk_f16 v66, v50, 0x3964, v54
	v_fmac_f16_e32 v54, 0xb964, v50
	v_fmamk_f16 v67, v50, 0x3b29, v55
	v_fmac_f16_e32 v55, 0xbb29, v50
	v_add_f16_e32 v48, v48, v17
	v_fmamk_f16 v68, v50, 0x3bf7, v56
	v_fmac_f16_e32 v56, 0xbbf7, v50
	;; [unrolled: 5-line block ×4, first 2 shown]
	v_mul_f16_e32 v62, 0xb8d2, v51
	v_mul_f16_e32 v63, 0xbbdd, v51
	v_add_f16_e32 v48, v48, v9
	v_fmamk_f16 v50, v47, 0x3964, v60
	v_fmac_f16_e32 v60, 0xb964, v47
	v_add_f16_e32 v65, v14, v65
	v_add_f16_e32 v49, v14, v49
	;; [unrolled: 1-line block ×20, first 2 shown]
	v_fmamk_f16 v74, v47, 0x3a62, v62
	v_fmac_f16_e32 v62, 0xba62, v47
	v_add_f16_e32 v48, v48, v44
	v_mul_f16_e32 v61, 0x2de8, v51
	v_mul_f16_e32 v64, 0xbacd, v51
	v_add_f16_e32 v43, v43, v44
	v_add_f16_e32 v55, v62, v55
	;; [unrolled: 1-line block ×4, first 2 shown]
	v_mul_f16_e32 v60, 0xb461, v51
	v_fmamk_f16 v73, v47, 0x3bf7, v61
	v_fmac_f16_e32 v61, 0xbbf7, v47
	v_add_f16_e32 v14, v14, v45
	v_fmamk_f16 v45, v47, 0x31e1, v63
	v_fmac_f16_e32 v63, 0xb1e1, v47
	v_fmamk_f16 v62, v47, 0xbbb2, v60
	v_fmac_f16_e32 v60, 0x3bb2, v47
	v_mul_f16_e32 v42, 0x3722, v43
	v_add_f16_e32 v50, v50, v65
	v_add_f16_e32 v56, v63, v56
	v_mul_f16_e32 v63, 0x3722, v51
	v_mul_f16_e32 v51, 0x3b76, v51
	v_add_f16_e32 v58, v60, v58
	v_add_f16_e32 v49, v61, v54
	v_fmamk_f16 v61, v47, 0xb836, v64
	v_fmamk_f16 v44, v47, 0xbb29, v63
	v_fmac_f16_e32 v63, 0x3b29, v47
	v_fmamk_f16 v60, v47, 0xb5c8, v51
	v_fmac_f16_e32 v51, 0x35c8, v47
	v_fmac_f16_e32 v64, 0x3836, v47
	v_add_f16_e32 v48, v73, v66
	v_add_f16_e32 v47, v63, v59
	;; [unrolled: 1-line block ×3, first 2 shown]
	v_fmamk_f16 v60, v41, 0x3b29, v42
	v_mul_f16_e32 v63, 0xb8d2, v43
	v_add_f16_e32 v51, v51, v52
	v_fmac_f16_e32 v42, 0xbb29, v41
	v_mul_f16_e32 v52, 0xbbdd, v43
	v_add_f16_e32 v54, v74, v67
	v_add_f16_e32 v57, v64, v57
	;; [unrolled: 1-line block ×3, first 2 shown]
	v_fmamk_f16 v60, v41, 0x3a62, v63
	v_add_f16_e32 v42, v42, v46
	v_fmamk_f16 v46, v41, 0xb1e1, v52
	v_mul_f16_e32 v64, 0xb461, v43
	v_add_f16_e32 v45, v45, v68
	v_add_f16_e32 v48, v60, v48
	v_mul_f16_e32 v60, 0x39e9, v43
	v_add_f16_e32 v46, v46, v54
	v_fmamk_f16 v54, v41, 0xbbb2, v64
	v_fmac_f16_e32 v64, 0x3bb2, v41
	v_add_f16_e32 v61, v61, v69
	v_fmac_f16_e32 v52, 0x31e1, v41
	v_add_f16_e32 v44, v44, v71
	v_add_f16_e32 v45, v54, v45
	v_fmamk_f16 v54, v41, 0xb964, v60
	v_add_f16_e32 v56, v64, v56
	v_mul_f16_e32 v64, 0x2de8, v43
	v_fmac_f16_e32 v63, 0xba62, v41
	v_add_f16_e32 v52, v52, v55
	v_mul_f16_e32 v55, 0x3b76, v43
	v_add_f16_e32 v54, v54, v61
	v_fmamk_f16 v61, v41, 0x3bf7, v64
	v_mul_f16_e32 v43, 0xbacd, v43
	v_add_f16_e32 v37, v37, v40
	v_add_f16_e32 v49, v63, v49
	v_fmamk_f16 v63, v41, 0x35c8, v55
	v_fmac_f16_e32 v55, 0xb5c8, v41
	v_add_f16_e32 v40, v61, v44
	v_fmamk_f16 v44, v41, 0x3836, v43
	v_sub_f16_e32 v25, v25, v26
	v_mul_f16_e32 v26, 0x2de8, v37
	v_fmac_f16_e32 v43, 0xb836, v41
	v_add_f16_e32 v55, v55, v58
	v_fmac_f16_e32 v60, 0x3964, v41
	v_fmac_f16_e32 v64, 0xbbf7, v41
	v_fmamk_f16 v58, v25, 0x3bf7, v26
	v_fmac_f16_e32 v26, 0xbbf7, v25
	v_add_f16_e32 v43, v43, v51
	v_mul_f16_e32 v51, 0xb461, v37
	v_add_f16_e32 v41, v44, v59
	v_mul_f16_e32 v44, 0xbbdd, v37
	v_add_f16_e32 v26, v26, v42
	v_add_f16_e32 v50, v58, v50
	v_fmamk_f16 v42, v25, 0xbbb2, v51
	v_mul_f16_e32 v58, 0x3b76, v37
	v_fmamk_f16 v59, v25, 0x31e1, v44
	v_fmac_f16_e32 v44, 0xb1e1, v25
	v_fmac_f16_e32 v51, 0x3bb2, v25
	v_add_f16_e32 v42, v42, v46
	v_mul_f16_e32 v46, 0x3722, v37
	v_add_f16_e32 v57, v60, v57
	v_add_f16_e32 v48, v59, v48
	;; [unrolled: 1-line block ×3, first 2 shown]
	v_fmamk_f16 v49, v25, 0xb5c8, v58
	v_add_f16_e32 v51, v51, v52
	v_fmac_f16_e32 v58, 0x35c8, v25
	v_mul_f16_e32 v52, 0xbacd, v37
	v_fmamk_f16 v59, v25, 0x3b29, v46
	v_fmac_f16_e32 v46, 0xbb29, v25
	v_add_f16_e32 v45, v49, v45
	v_add_f16_e32 v49, v58, v56
	v_fmamk_f16 v56, v25, 0x3836, v52
	v_fmac_f16_e32 v52, 0xb836, v25
	v_add_f16_e32 v46, v46, v57
	v_mul_f16_e32 v57, 0xb8d2, v37
	v_mul_f16_e32 v37, 0x39e9, v37
	v_add_f16_e32 v23, v23, v24
	v_add_f16_e32 v47, v64, v47
	;; [unrolled: 1-line block ×3, first 2 shown]
	v_fmamk_f16 v24, v25, 0xba62, v57
	v_fmac_f16_e32 v57, 0x3a62, v25
	v_fmamk_f16 v55, v25, 0xb964, v37
	v_sub_f16_e32 v21, v21, v22
	v_mul_f16_e32 v22, 0xb461, v23
	v_fmac_f16_e32 v37, 0x3964, v25
	v_add_f16_e32 v24, v24, v40
	v_add_f16_e32 v25, v57, v47
	;; [unrolled: 1-line block ×3, first 2 shown]
	v_fmamk_f16 v41, v21, 0x3bb2, v22
	v_mul_f16_e32 v47, 0xbacd, v23
	v_add_f16_e32 v37, v37, v43
	v_fmac_f16_e32 v22, 0xbbb2, v21
	v_mul_f16_e32 v43, 0x39e9, v23
	v_add_f16_e32 v62, v62, v70
	v_add_f16_e32 v41, v41, v50
	v_fmamk_f16 v50, v21, 0xb836, v47
	v_fmac_f16_e32 v47, 0x3836, v21
	v_add_f16_e32 v22, v22, v26
	v_fmamk_f16 v26, v21, 0xb964, v43
	v_mul_f16_e32 v55, 0x3722, v23
	v_add_f16_e32 v60, v63, v62
	v_add_f16_e32 v48, v50, v48
	;; [unrolled: 1-line block ×3, first 2 shown]
	v_fmac_f16_e32 v43, 0x3964, v21
	v_add_f16_e32 v26, v26, v42
	v_fmamk_f16 v42, v21, 0x3b29, v55
	v_mul_f16_e32 v47, 0xbbdd, v23
	v_fmac_f16_e32 v55, 0xbb29, v21
	v_mul_f16_e32 v50, 0x2de8, v23
	v_add_f16_e32 v56, v56, v60
	v_add_f16_e32 v43, v43, v51
	;; [unrolled: 1-line block ×3, first 2 shown]
	v_fmamk_f16 v45, v21, 0x31e1, v47
	v_add_f16_e32 v49, v55, v49
	v_fmac_f16_e32 v47, 0xb1e1, v21
	v_fmamk_f16 v51, v21, 0xbbf7, v50
	v_mul_f16_e32 v55, 0x3b76, v23
	v_mul_f16_e32 v23, 0xb8d2, v23
	v_add_f16_e32 v17, v17, v18
	v_add_f16_e32 v46, v47, v46
	;; [unrolled: 1-line block ×3, first 2 shown]
	v_fmamk_f16 v51, v21, 0x35c8, v55
	v_sub_f16_e32 v15, v15, v16
	v_mul_f16_e32 v16, 0xb8d2, v17
	v_fmac_f16_e32 v50, 0x3bf7, v21
	v_fmac_f16_e32 v55, 0xb5c8, v21
	v_add_f16_e32 v18, v51, v24
	v_fmamk_f16 v24, v21, 0x3a62, v23
	v_fmac_f16_e32 v23, 0xba62, v21
	v_add_f16_e32 v12, v12, v13
	v_add_f16_e32 v25, v55, v25
	v_sub_f16_e32 v10, v10, v11
	v_add_f16_e32 v21, v24, v40
	v_mul_f16_e32 v24, 0xb461, v17
	v_fmamk_f16 v40, v15, 0x3a62, v16
	v_fmac_f16_e32 v16, 0xba62, v15
	v_add_f16_e32 v23, v23, v37
	v_mul_f16_e32 v37, 0x3b76, v17
	v_fmamk_f16 v51, v15, 0xbbb2, v24
	v_add_f16_e32 v40, v40, v41
	v_add_f16_e32 v16, v16, v22
	v_fmac_f16_e32 v24, 0x3bb2, v15
	v_fmamk_f16 v22, v15, 0x35c8, v37
	v_add_f16_e32 v41, v51, v48
	v_mul_f16_e32 v48, 0xbacd, v17
	v_fmac_f16_e32 v37, 0xb5c8, v15
	v_add_f16_e32 v24, v24, v44
	v_add_f16_e32 v22, v22, v26
	v_mul_f16_e32 v26, 0x2de8, v17
	v_fmamk_f16 v44, v15, 0x3836, v48
	v_add_f16_e32 v37, v37, v43
	v_fmac_f16_e32 v48, 0xb836, v15
	v_mul_f16_e32 v43, 0x39e9, v17
	v_fmamk_f16 v51, v15, 0xbbf7, v26
	v_fmac_f16_e32 v26, 0x3bf7, v15
	v_add_f16_e32 v42, v44, v42
	v_add_f16_e32 v44, v48, v49
	v_fmamk_f16 v48, v15, 0x3964, v43
	v_mul_f16_e32 v11, 0xbacd, v12
	v_add_f16_e32 v26, v26, v46
	v_mul_f16_e32 v46, 0xbbdd, v17
	v_mul_f16_e32 v17, 0x3722, v17
	v_add_f16_e32 v47, v48, v47
	v_fmac_f16_e32 v43, 0xb964, v15
	v_add_f16_e32 v8, v8, v9
	v_fmamk_f16 v13, v15, 0x31e1, v46
	v_fmac_f16_e32 v46, 0xb1e1, v15
	v_fmamk_f16 v48, v15, 0xbb29, v17
	v_fmac_f16_e32 v17, 0x3b29, v15
	v_add_f16_e32 v50, v50, v52
	v_add_f16_e32 v13, v13, v18
	;; [unrolled: 1-line block ×4, first 2 shown]
	v_fmamk_f16 v21, v10, 0x3836, v11
	v_mul_f16_e32 v25, 0x3722, v12
	v_add_f16_e32 v17, v17, v23
	v_fmac_f16_e32 v11, 0xb836, v10
	v_mul_f16_e32 v23, 0x2de8, v12
	v_add_f16_e32 v21, v21, v40
	v_fmamk_f16 v40, v10, 0xbb29, v25
	v_fmac_f16_e32 v25, 0x3b29, v10
	v_add_f16_e32 v11, v11, v16
	v_fmamk_f16 v16, v10, 0x3bf7, v23
	v_mul_f16_e32 v46, 0xb8d2, v12
	v_fmac_f16_e32 v23, 0xbbf7, v10
	v_add_f16_e32 v24, v25, v24
	v_mul_f16_e32 v25, 0x3b76, v12
	v_add_f16_e32 v16, v16, v22
	v_fmamk_f16 v22, v10, 0xba62, v46
	v_fmac_f16_e32 v46, 0x3a62, v10
	v_add_f16_e32 v23, v23, v37
	v_mul_f16_e32 v37, 0xbbdd, v12
	v_add_f16_e32 v40, v40, v41
	v_add_f16_e32 v22, v22, v42
	v_fmamk_f16 v41, v10, 0x35c8, v25
	v_add_f16_e32 v42, v46, v44
	v_fmac_f16_e32 v25, 0xb5c8, v10
	v_fmamk_f16 v44, v10, 0x31e1, v37
	v_mul_f16_e32 v46, 0x39e9, v12
	v_mul_f16_e32 v12, 0xb461, v12
	v_sub_f16_e32 v6, v6, v7
	v_add_f16_e32 v25, v25, v26
	v_add_f16_e32 v26, v44, v47
	v_fmamk_f16 v44, v10, 0xb964, v46
	v_mul_f16_e32 v7, 0xbbdd, v8
	v_add_f16_e32 v43, v43, v50
	v_fmac_f16_e32 v37, 0xb1e1, v10
	v_fmac_f16_e32 v46, 0x3964, v10
	v_add_f16_e32 v9, v44, v13
	v_fmamk_f16 v13, v10, 0x3bb2, v12
	v_fmac_f16_e32 v12, 0xbbb2, v10
	v_add_f16_e32 v37, v37, v43
	v_add_f16_e32 v54, v59, v54
	v_mul_u32_u24_e32 v1, 0x66, v1
	v_add_f16_e32 v10, v13, v18
	v_mul_f16_e32 v13, 0x3b76, v8
	v_fmamk_f16 v18, v6, 0x31e1, v7
	v_fmac_f16_e32 v7, 0xb1e1, v6
	v_add_f16_e32 v12, v12, v17
	v_mul_f16_e32 v17, 0xbacd, v8
	v_fmamk_f16 v43, v6, 0xb5c8, v13
	v_add_f16_e32 v18, v18, v21
	v_add_f16_e32 v7, v7, v11
	v_fmac_f16_e32 v13, 0x35c8, v6
	v_fmamk_f16 v11, v6, 0x3836, v17
	v_add_f16_e32 v21, v43, v40
	v_mul_f16_e32 v40, 0x39e9, v8
	v_fmac_f16_e32 v17, 0xb836, v6
	v_add_f16_e32 v45, v45, v54
	v_add_f16_e32 v11, v11, v16
	v_mul_f16_e32 v16, 0xb8d2, v8
	v_add_f16_e32 v13, v13, v24
	v_fmamk_f16 v24, v6, 0xb964, v40
	v_add_f16_e32 v17, v17, v23
	v_fmac_f16_e32 v40, 0x3964, v6
	v_mul_f16_e32 v23, 0x3722, v8
	v_fmamk_f16 v43, v6, 0x3a62, v16
	v_fmac_f16_e32 v16, 0xba62, v6
	v_add_f16_e32 v45, v51, v45
	v_add_f16_e32 v22, v24, v22
	;; [unrolled: 1-line block ×3, first 2 shown]
	v_fmamk_f16 v40, v6, 0xbb29, v23
	v_fmac_f16_e32 v23, 0x3b29, v6
	v_add_f16_e32 v16, v16, v25
	v_mul_f16_e32 v25, 0xb461, v8
	v_mul_f16_e32 v8, 0x2de8, v8
	v_add_f16_e32 v41, v41, v45
	v_add_f16_e32 v15, v46, v15
	;; [unrolled: 1-line block ×4, first 2 shown]
	v_fmamk_f16 v37, v6, 0x3bb2, v25
	v_fmac_f16_e32 v25, 0xbbb2, v6
	v_fmamk_f16 v40, v6, 0xbbf7, v8
	v_fmac_f16_e32 v8, 0x3bf7, v6
	v_add3_u32 v1, 0, v1, v5
	v_add_f16_e32 v41, v43, v41
	v_add_f16_e32 v5, v37, v9
	;; [unrolled: 1-line block ×5, first 2 shown]
	ds_store_b16 v1, v14
	ds_store_b16 v1, v18 offset:6
	ds_store_b16 v1, v21 offset:12
	;; [unrolled: 1-line block ×16, first 2 shown]
.LBB0_25:
	s_or_b32 exec_lo, exec_lo, s1
	v_lshlrev_b32_e32 v1, 2, v53
	s_waitcnt lgkmcnt(0)
	s_barrier
	buffer_gl0_inv
	s_clause 0x1
	global_load_b128 v[5:8], v1, s[4:5] offset:192
	global_load_b64 v[9:10], v1, s[4:5] offset:208
	ds_load_u16 v1, v4
	ds_load_u16 v11, v4 offset:204
	ds_load_u16 v12, v4 offset:408
	;; [unrolled: 1-line block ×13, first 2 shown]
	s_waitcnt vmcnt(0) lgkmcnt(0)
	s_barrier
	buffer_gl0_inv
	v_lshrrev_b32_e32 v26, 16, v5
	v_lshrrev_b32_e32 v37, 16, v6
	;; [unrolled: 1-line block ×6, first 2 shown]
	v_mul_f16_e32 v44, v11, v26
	v_mul_f16_e32 v46, v12, v37
	;; [unrolled: 1-line block ×24, first 2 shown]
	v_fmac_f16_e32 v44, v39, v5
	v_fmac_f16_e32 v46, v36, v6
	;; [unrolled: 1-line block ×4, first 2 shown]
	v_fma_f16 v11, v11, v5, -v45
	v_fma_f16 v12, v12, v6, -v47
	;; [unrolled: 1-line block ×6, first 2 shown]
	v_fmac_f16_e32 v56, v32, v5
	v_fma_f16 v5, v18, v5, -v26
	v_fmac_f16_e32 v57, v30, v6
	v_fmac_f16_e32 v60, v31, v9
	;; [unrolled: 1-line block ×3, first 2 shown]
	v_fma_f16 v10, v22, v10, -v43
	v_fma_f16 v6, v17, v6, -v37
	;; [unrolled: 1-line block ×3, first 2 shown]
	v_fmac_f16_e32 v48, v34, v7
	v_fmac_f16_e32 v50, v29, v8
	;; [unrolled: 1-line block ×3, first 2 shown]
	v_fma_f16 v7, v15, v7, -v40
	v_fmac_f16_e32 v59, v33, v8
	v_fma_f16 v8, v25, v8, -v41
	v_add_f16_e32 v15, v44, v54
	v_add_f16_e32 v22, v46, v52
	;; [unrolled: 1-line block ×3, first 2 shown]
	v_sub_f16_e32 v11, v11, v23
	v_add_f16_e32 v23, v12, v14
	v_add_f16_e32 v25, v16, v13
	v_sub_f16_e32 v13, v13, v16
	v_add_f16_e32 v16, v56, v61
	v_add_f16_e32 v27, v5, v10
	v_sub_f16_e32 v5, v5, v10
	v_add_f16_e32 v10, v57, v60
	v_sub_f16_e32 v12, v12, v14
	v_add_f16_e32 v29, v6, v9
	v_add_f16_e32 v14, v48, v50
	v_sub_f16_e32 v6, v6, v9
	v_add_f16_e32 v31, v7, v8
	v_sub_f16_e32 v7, v8, v7
	;; [unrolled: 2-line block ×3, first 2 shown]
	v_sub_f16_e32 v24, v46, v52
	v_sub_f16_e32 v26, v50, v48
	v_add_f16_e32 v9, v58, v59
	v_add_f16_e32 v33, v23, v17
	;; [unrolled: 1-line block ×3, first 2 shown]
	v_sub_f16_e32 v28, v56, v61
	v_sub_f16_e32 v30, v57, v60
	;; [unrolled: 1-line block ×6, first 2 shown]
	v_add_f16_e32 v37, v13, v12
	v_sub_f16_e32 v39, v13, v12
	v_sub_f16_e32 v12, v12, v11
	v_add_f16_e32 v41, v29, v27
	v_sub_f16_e32 v34, v22, v15
	v_sub_f16_e32 v15, v15, v14
	;; [unrolled: 3-line block ×3, first 2 shown]
	v_add_f16_e32 v8, v14, v8
	v_sub_f16_e32 v22, v14, v22
	v_add_f16_e32 v36, v26, v24
	v_sub_f16_e32 v38, v26, v24
	v_sub_f16_e32 v24, v24, v18
	;; [unrolled: 1-line block ×5, first 2 shown]
	v_add_f16_e32 v14, v25, v33
	v_add_f16_e32 v9, v9, v40
	v_sub_f16_e32 v13, v11, v13
	v_sub_f16_e32 v43, v29, v27
	v_sub_f16_e32 v27, v27, v31
	v_sub_f16_e32 v29, v31, v29
	v_add_f16_e32 v44, v32, v30
	v_sub_f16_e32 v46, v32, v30
	v_sub_f16_e32 v30, v30, v28
	v_add_f16_e32 v11, v37, v11
	v_mul_f16_e32 v17, 0x3a52, v17
	v_mul_f16_e32 v33, 0x2b26, v23
	;; [unrolled: 1-line block ×4, first 2 shown]
	v_add_f16_e32 v31, v31, v41
	v_sub_f16_e32 v7, v5, v7
	v_mul_f16_e32 v15, 0x3a52, v15
	v_add_f16_e32 v5, v45, v5
	v_mul_f16_e32 v45, 0x3846, v47
	v_mul_f16_e32 v47, 0xbb00, v6
	v_add_f16_e32 v19, v19, v8
	v_mul_f16_e32 v25, 0x2b26, v22
	v_sub_f16_e32 v26, v18, v26
	v_add_f16_e32 v18, v36, v18
	v_mul_f16_e32 v36, 0x3846, v38
	v_mul_f16_e32 v38, 0xbb00, v24
	;; [unrolled: 1-line block ×4, first 2 shown]
	v_add_f16_e32 v1, v1, v14
	v_add_f16_e32 v20, v20, v9
	v_sub_f16_e32 v32, v28, v32
	v_add_f16_e32 v28, v44, v28
	v_mul_f16_e32 v27, 0x3a52, v27
	v_mul_f16_e32 v41, 0x2b26, v29
	;; [unrolled: 1-line block ×4, first 2 shown]
	v_fmamk_f16 v23, v23, 0x2b26, v17
	v_fma_f16 v33, v35, 0x39e0, -v33
	v_fma_f16 v17, v35, 0xb9e0, -v17
	v_fmamk_f16 v35, v13, 0xb574, v37
	v_fma_f16 v12, v12, 0xbb00, -v37
	v_fma_f16 v13, v13, 0x3574, -v39
	v_add_f16_e32 v21, v21, v31
	v_fmamk_f16 v22, v22, 0x2b26, v15
	v_fmamk_f16 v39, v7, 0xb574, v45
	v_fma_f16 v6, v6, 0xbb00, -v45
	v_fma_f16 v7, v7, 0x3574, -v47
	v_fmamk_f16 v8, v8, 0xbcab, v19
	v_fma_f16 v25, v34, 0x39e0, -v25
	v_fma_f16 v15, v34, 0xb9e0, -v15
	v_fmamk_f16 v34, v26, 0xb574, v36
	v_fma_f16 v24, v24, 0xbb00, -v36
	v_fma_f16 v26, v26, 0x3574, -v38
	v_fmamk_f16 v10, v10, 0x2b26, v16
	v_fma_f16 v36, v42, 0x39e0, -v40
	v_fma_f16 v16, v42, 0xb9e0, -v16
	v_fmamk_f16 v14, v14, 0xbcab, v1
	v_fmamk_f16 v9, v9, 0xbcab, v20
	;; [unrolled: 1-line block ×3, first 2 shown]
	v_fma_f16 v37, v43, 0x39e0, -v41
	v_fma_f16 v27, v43, 0xb9e0, -v27
	v_fmamk_f16 v38, v32, 0xb574, v44
	v_fma_f16 v30, v30, 0xbb00, -v44
	v_fma_f16 v32, v32, 0x3574, -v46
	v_fmac_f16_e32 v35, 0xb70e, v11
	v_fmac_f16_e32 v12, 0xb70e, v11
	;; [unrolled: 1-line block ×3, first 2 shown]
	v_fmamk_f16 v11, v31, 0xbcab, v21
	v_fmac_f16_e32 v39, 0xb70e, v5
	v_fmac_f16_e32 v6, 0xb70e, v5
	;; [unrolled: 1-line block ×3, first 2 shown]
	v_add_f16_e32 v5, v22, v8
	v_add_f16_e32 v22, v25, v8
	;; [unrolled: 1-line block ×3, first 2 shown]
	v_fmac_f16_e32 v34, 0xb70e, v18
	v_fmac_f16_e32 v24, 0xb70e, v18
	;; [unrolled: 1-line block ×3, first 2 shown]
	v_add_f16_e32 v18, v23, v14
	v_add_f16_e32 v23, v33, v14
	;; [unrolled: 1-line block ×6, first 2 shown]
	v_fmac_f16_e32 v38, 0xb70e, v28
	v_fmac_f16_e32 v30, 0xb70e, v28
	;; [unrolled: 1-line block ×3, first 2 shown]
	v_add_f16_e32 v15, v29, v11
	v_add_f16_e32 v25, v37, v11
	;; [unrolled: 1-line block ×5, first 2 shown]
	v_sub_f16_e32 v31, v22, v12
	v_sub_f16_e32 v27, v18, v34
	;; [unrolled: 1-line block ×3, first 2 shown]
	v_add_f16_e32 v33, v24, v23
	v_add_f16_e32 v12, v12, v22
	v_sub_f16_e32 v22, v23, v24
	v_sub_f16_e32 v8, v8, v13
	v_add_f16_e32 v23, v26, v14
	v_sub_f16_e32 v5, v5, v35
	v_add_f16_e32 v24, v34, v18
	v_add_f16_e32 v13, v39, v10
	;; [unrolled: 1-line block ×3, first 2 shown]
	v_sub_f16_e32 v18, v17, v6
	v_add_f16_e32 v6, v6, v17
	v_sub_f16_e32 v7, v9, v7
	v_sub_f16_e32 v9, v10, v39
	;; [unrolled: 1-line block ×4, first 2 shown]
	v_add_f16_e32 v35, v30, v25
	v_sub_f16_e32 v25, v25, v30
	v_add_f16_e32 v30, v32, v11
	v_add_f16_e32 v32, v38, v15
	ds_store_b16 v4, v19
	ds_store_b16 v4, v16 offset:102
	ds_store_b16 v4, v28 offset:204
	;; [unrolled: 1-line block ×13, first 2 shown]
	s_waitcnt lgkmcnt(0)
	s_barrier
	buffer_gl0_inv
	ds_load_u16 v5, v4
	ds_load_u16 v6, v4 offset:102
	ds_load_u16 v7, v4 offset:204
	;; [unrolled: 1-line block ×13, first 2 shown]
	s_waitcnt lgkmcnt(0)
	s_barrier
	buffer_gl0_inv
	ds_store_b16 v4, v1
	ds_store_b16 v4, v27 offset:102
	ds_store_b16 v4, v29 offset:204
	;; [unrolled: 1-line block ×13, first 2 shown]
	s_waitcnt lgkmcnt(0)
	s_barrier
	buffer_gl0_inv
	s_and_saveexec_b32 s0, vcc_lo
	s_cbranch_execz .LBB0_27
; %bb.26:
	v_mov_b32_e32 v1, 0
	s_delay_alu instid0(VALU_DEP_1) | instskip(NEXT) | instid1(VALU_DEP_1)
	v_lshlrev_b64 v[19:20], 2, v[0:1]
	v_add_co_u32 v21, vcc_lo, s4, v19
	s_delay_alu instid0(VALU_DEP_2)
	v_add_co_ci_u32_e32 v22, vcc_lo, s5, v20, vcc_lo
	v_add_co_u32 v44, vcc_lo, s8, v2
	v_add_co_ci_u32_e32 v45, vcc_lo, s9, v3, vcc_lo
	s_clause 0x6
	global_load_b32 v23, v[21:22], off offset:2640
	global_load_b32 v24, v[21:22], off offset:2436
	;; [unrolled: 1-line block ×7, first 2 shown]
	v_add_nc_u32_e32 v22, 0xff, v0
	ds_load_u16 v30, v4 offset:1326
	ds_load_u16 v31, v4 offset:1224
	;; [unrolled: 1-line block ×7, first 2 shown]
	v_add_nc_u32_e32 v21, 0xcc, v0
	ds_load_u16 v38, v4 offset:612
	ds_load_u16 v39, v4 offset:510
	ds_load_u16 v40, v4 offset:408
	ds_load_u16 v41, v4 offset:306
	ds_load_u16 v42, v4 offset:204
	ds_load_u16 v43, v4 offset:102
	ds_load_u16 v4, v4
	v_dual_mov_b32 v3, v1 :: v_dual_add_nc_u32 v0, 0x132, v0
	v_mul_hi_u32 v37, 0x16f26017, v22
	v_mov_b32_e32 v22, v1
	v_mul_hi_u32 v21, 0x16f26017, v21
	v_add_co_u32 v19, vcc_lo, v44, v19
	v_mul_hi_u32 v0, 0x16f26017, v0
	v_add_co_ci_u32_e32 v20, vcc_lo, v45, v20, vcc_lo
	v_lshrrev_b32_e32 v37, 5, v37
	v_lshrrev_b32_e32 v21, 5, v21
	s_delay_alu instid0(VALU_DEP_2) | instskip(SKIP_1) | instid1(VALU_DEP_3)
	v_mul_u32_u24_e32 v2, 0x165, v37
	v_lshrrev_b32_e32 v0, 5, v0
	v_mul_u32_u24_e32 v21, 0x165, v21
	s_delay_alu instid0(VALU_DEP_3) | instskip(NEXT) | instid1(VALU_DEP_3)
	v_lshlrev_b64 v[2:3], 2, v[2:3]
	v_mul_u32_u24_e32 v0, 0x165, v0
	s_delay_alu instid0(VALU_DEP_3) | instskip(NEXT) | instid1(VALU_DEP_2)
	v_lshlrev_b64 v[21:22], 2, v[21:22]
	v_lshlrev_b64 v[0:1], 2, v[0:1]
	s_delay_alu instid0(VALU_DEP_2) | instskip(NEXT) | instid1(VALU_DEP_3)
	v_add_co_u32 v21, vcc_lo, v19, v21
	v_add_co_ci_u32_e32 v22, vcc_lo, v20, v22, vcc_lo
	v_add_co_u32 v2, vcc_lo, v19, v2
	v_add_co_ci_u32_e32 v3, vcc_lo, v20, v3, vcc_lo
	;; [unrolled: 2-line block ×3, first 2 shown]
	s_waitcnt vmcnt(6)
	v_lshrrev_b32_e32 v37, 16, v23
	s_waitcnt vmcnt(5)
	v_lshrrev_b32_e32 v45, 16, v24
	;; [unrolled: 2-line block ×7, first 2 shown]
	v_mul_f16_e32 v56, v12, v29
	v_mul_f16_e32 v54, v13, v28
	;; [unrolled: 1-line block ×14, first 2 shown]
	s_waitcnt lgkmcnt(7)
	v_fmac_f16_e32 v56, v36, v55
	v_fma_f16 v12, v36, v29, -v12
	v_fmac_f16_e32 v54, v35, v53
	v_fma_f16 v13, v35, v28, -v13
	;; [unrolled: 2-line block ×4, first 2 shown]
	v_fmac_f16_e32 v44, v30, v37
	v_fmac_f16_e32 v46, v31, v45
	;; [unrolled: 1-line block ×3, first 2 shown]
	v_fma_f16 v18, v30, v23, -v18
	v_fma_f16 v17, v31, v24, -v17
	;; [unrolled: 1-line block ×3, first 2 shown]
	v_sub_f16_e32 v28, v5, v56
	s_waitcnt lgkmcnt(0)
	v_sub_f16_e32 v12, v4, v12
	v_sub_f16_e32 v27, v6, v54
	;; [unrolled: 1-line block ×13, first 2 shown]
	v_fma_f16 v5, v5, 2.0, -v28
	v_fma_f16 v4, v4, 2.0, -v12
	;; [unrolled: 1-line block ×14, first 2 shown]
	v_pack_b32_f16 v4, v5, v4
	v_pack_b32_f16 v5, v6, v34
	;; [unrolled: 1-line block ×14, first 2 shown]
	s_clause 0xd
	global_store_b32 v[19:20], v4, off
	global_store_b32 v[19:20], v5, off offset:204
	global_store_b32 v[19:20], v6, off offset:408
	;; [unrolled: 1-line block ×13, first 2 shown]
.LBB0_27:
	s_nop 0
	s_sendmsg sendmsg(MSG_DEALLOC_VGPRS)
	s_endpgm
	.section	.rodata,"a",@progbits
	.p2align	6, 0x0
	.amdhsa_kernel fft_rtc_back_len714_factors_3_17_7_2_wgs_51_tpt_51_halfLds_half_ip_CI_unitstride_sbrr_dirReg
		.amdhsa_group_segment_fixed_size 0
		.amdhsa_private_segment_fixed_size 0
		.amdhsa_kernarg_size 88
		.amdhsa_user_sgpr_count 15
		.amdhsa_user_sgpr_dispatch_ptr 0
		.amdhsa_user_sgpr_queue_ptr 0
		.amdhsa_user_sgpr_kernarg_segment_ptr 1
		.amdhsa_user_sgpr_dispatch_id 0
		.amdhsa_user_sgpr_private_segment_size 0
		.amdhsa_wavefront_size32 1
		.amdhsa_uses_dynamic_stack 0
		.amdhsa_enable_private_segment 0
		.amdhsa_system_sgpr_workgroup_id_x 1
		.amdhsa_system_sgpr_workgroup_id_y 0
		.amdhsa_system_sgpr_workgroup_id_z 0
		.amdhsa_system_sgpr_workgroup_info 0
		.amdhsa_system_vgpr_workitem_id 0
		.amdhsa_next_free_vgpr 91
		.amdhsa_next_free_sgpr 21
		.amdhsa_reserve_vcc 1
		.amdhsa_float_round_mode_32 0
		.amdhsa_float_round_mode_16_64 0
		.amdhsa_float_denorm_mode_32 3
		.amdhsa_float_denorm_mode_16_64 3
		.amdhsa_dx10_clamp 1
		.amdhsa_ieee_mode 1
		.amdhsa_fp16_overflow 0
		.amdhsa_workgroup_processor_mode 1
		.amdhsa_memory_ordered 1
		.amdhsa_forward_progress 0
		.amdhsa_shared_vgpr_count 0
		.amdhsa_exception_fp_ieee_invalid_op 0
		.amdhsa_exception_fp_denorm_src 0
		.amdhsa_exception_fp_ieee_div_zero 0
		.amdhsa_exception_fp_ieee_overflow 0
		.amdhsa_exception_fp_ieee_underflow 0
		.amdhsa_exception_fp_ieee_inexact 0
		.amdhsa_exception_int_div_zero 0
	.end_amdhsa_kernel
	.text
.Lfunc_end0:
	.size	fft_rtc_back_len714_factors_3_17_7_2_wgs_51_tpt_51_halfLds_half_ip_CI_unitstride_sbrr_dirReg, .Lfunc_end0-fft_rtc_back_len714_factors_3_17_7_2_wgs_51_tpt_51_halfLds_half_ip_CI_unitstride_sbrr_dirReg
                                        ; -- End function
	.section	.AMDGPU.csdata,"",@progbits
; Kernel info:
; codeLenInByte = 11020
; NumSgprs: 23
; NumVgprs: 91
; ScratchSize: 0
; MemoryBound: 0
; FloatMode: 240
; IeeeMode: 1
; LDSByteSize: 0 bytes/workgroup (compile time only)
; SGPRBlocks: 2
; VGPRBlocks: 11
; NumSGPRsForWavesPerEU: 23
; NumVGPRsForWavesPerEU: 91
; Occupancy: 16
; WaveLimiterHint : 1
; COMPUTE_PGM_RSRC2:SCRATCH_EN: 0
; COMPUTE_PGM_RSRC2:USER_SGPR: 15
; COMPUTE_PGM_RSRC2:TRAP_HANDLER: 0
; COMPUTE_PGM_RSRC2:TGID_X_EN: 1
; COMPUTE_PGM_RSRC2:TGID_Y_EN: 0
; COMPUTE_PGM_RSRC2:TGID_Z_EN: 0
; COMPUTE_PGM_RSRC2:TIDIG_COMP_CNT: 0
	.text
	.p2alignl 7, 3214868480
	.fill 96, 4, 3214868480
	.type	__hip_cuid_533c396b3b02069f,@object ; @__hip_cuid_533c396b3b02069f
	.section	.bss,"aw",@nobits
	.globl	__hip_cuid_533c396b3b02069f
__hip_cuid_533c396b3b02069f:
	.byte	0                               ; 0x0
	.size	__hip_cuid_533c396b3b02069f, 1

	.ident	"AMD clang version 19.0.0git (https://github.com/RadeonOpenCompute/llvm-project roc-6.4.0 25133 c7fe45cf4b819c5991fe208aaa96edf142730f1d)"
	.section	".note.GNU-stack","",@progbits
	.addrsig
	.addrsig_sym __hip_cuid_533c396b3b02069f
	.amdgpu_metadata
---
amdhsa.kernels:
  - .args:
      - .actual_access:  read_only
        .address_space:  global
        .offset:         0
        .size:           8
        .value_kind:     global_buffer
      - .offset:         8
        .size:           8
        .value_kind:     by_value
      - .actual_access:  read_only
        .address_space:  global
        .offset:         16
        .size:           8
        .value_kind:     global_buffer
      - .actual_access:  read_only
        .address_space:  global
        .offset:         24
        .size:           8
        .value_kind:     global_buffer
      - .offset:         32
        .size:           8
        .value_kind:     by_value
      - .actual_access:  read_only
        .address_space:  global
        .offset:         40
        .size:           8
        .value_kind:     global_buffer
      - .actual_access:  read_only
        .address_space:  global
        .offset:         48
        .size:           8
        .value_kind:     global_buffer
      - .offset:         56
        .size:           4
        .value_kind:     by_value
      - .actual_access:  read_only
        .address_space:  global
        .offset:         64
        .size:           8
        .value_kind:     global_buffer
      - .actual_access:  read_only
        .address_space:  global
        .offset:         72
        .size:           8
        .value_kind:     global_buffer
      - .address_space:  global
        .offset:         80
        .size:           8
        .value_kind:     global_buffer
    .group_segment_fixed_size: 0
    .kernarg_segment_align: 8
    .kernarg_segment_size: 88
    .language:       OpenCL C
    .language_version:
      - 2
      - 0
    .max_flat_workgroup_size: 51
    .name:           fft_rtc_back_len714_factors_3_17_7_2_wgs_51_tpt_51_halfLds_half_ip_CI_unitstride_sbrr_dirReg
    .private_segment_fixed_size: 0
    .sgpr_count:     23
    .sgpr_spill_count: 0
    .symbol:         fft_rtc_back_len714_factors_3_17_7_2_wgs_51_tpt_51_halfLds_half_ip_CI_unitstride_sbrr_dirReg.kd
    .uniform_work_group_size: 1
    .uses_dynamic_stack: false
    .vgpr_count:     91
    .vgpr_spill_count: 0
    .wavefront_size: 32
    .workgroup_processor_mode: 1
amdhsa.target:   amdgcn-amd-amdhsa--gfx1100
amdhsa.version:
  - 1
  - 2
...

	.end_amdgpu_metadata
